;; amdgpu-corpus repo=ROCm/rocFFT kind=compiled arch=gfx906 opt=O3
	.text
	.amdgcn_target "amdgcn-amd-amdhsa--gfx906"
	.amdhsa_code_object_version 6
	.protected	fft_rtc_back_len378_factors_6_3_3_7_wgs_126_tpt_126_half_op_CI_CI_unitstride_sbrr_dirReg ; -- Begin function fft_rtc_back_len378_factors_6_3_3_7_wgs_126_tpt_126_half_op_CI_CI_unitstride_sbrr_dirReg
	.globl	fft_rtc_back_len378_factors_6_3_3_7_wgs_126_tpt_126_half_op_CI_CI_unitstride_sbrr_dirReg
	.p2align	8
	.type	fft_rtc_back_len378_factors_6_3_3_7_wgs_126_tpt_126_half_op_CI_CI_unitstride_sbrr_dirReg,@function
fft_rtc_back_len378_factors_6_3_3_7_wgs_126_tpt_126_half_op_CI_CI_unitstride_sbrr_dirReg: ; @fft_rtc_back_len378_factors_6_3_3_7_wgs_126_tpt_126_half_op_CI_CI_unitstride_sbrr_dirReg
; %bb.0:
	s_load_dwordx4 s[8:11], s[4:5], 0x58
	s_load_dwordx4 s[12:15], s[4:5], 0x0
	;; [unrolled: 1-line block ×3, first 2 shown]
	v_mul_u32_u24_e32 v1, 0x209, v0
	v_mov_b32_e32 v3, 0
	v_mov_b32_e32 v7, 0
	s_waitcnt lgkmcnt(0)
	v_cmp_lt_u64_e64 s[0:1], s[14:15], 2
	v_add_u32_sdwa v9, s6, v1 dst_sel:DWORD dst_unused:UNUSED_PAD src0_sel:DWORD src1_sel:WORD_1
	v_mov_b32_e32 v10, v3
	s_and_b64 vcc, exec, s[0:1]
	v_mov_b32_e32 v8, 0
	s_cbranch_vccnz .LBB0_8
; %bb.1:
	s_load_dwordx2 s[0:1], s[4:5], 0x10
	s_add_u32 s2, s18, 8
	s_addc_u32 s3, s19, 0
	s_add_u32 s6, s16, 8
	s_addc_u32 s7, s17, 0
	v_mov_b32_e32 v7, 0
	s_waitcnt lgkmcnt(0)
	s_add_u32 s20, s0, 8
	v_mov_b32_e32 v8, 0
	v_mov_b32_e32 v1, v7
	s_addc_u32 s21, s1, 0
	s_mov_b64 s[22:23], 1
	v_mov_b32_e32 v2, v8
.LBB0_2:                                ; =>This Inner Loop Header: Depth=1
	s_load_dwordx2 s[24:25], s[20:21], 0x0
                                        ; implicit-def: $vgpr5_vgpr6
	s_waitcnt lgkmcnt(0)
	v_or_b32_e32 v4, s25, v10
	v_cmp_ne_u64_e32 vcc, 0, v[3:4]
	s_and_saveexec_b64 s[0:1], vcc
	s_xor_b64 s[26:27], exec, s[0:1]
	s_cbranch_execz .LBB0_4
; %bb.3:                                ;   in Loop: Header=BB0_2 Depth=1
	v_cvt_f32_u32_e32 v4, s24
	v_cvt_f32_u32_e32 v5, s25
	s_sub_u32 s0, 0, s24
	s_subb_u32 s1, 0, s25
	v_mac_f32_e32 v4, 0x4f800000, v5
	v_rcp_f32_e32 v4, v4
	v_mul_f32_e32 v4, 0x5f7ffffc, v4
	v_mul_f32_e32 v5, 0x2f800000, v4
	v_trunc_f32_e32 v5, v5
	v_mac_f32_e32 v4, 0xcf800000, v5
	v_cvt_u32_f32_e32 v5, v5
	v_cvt_u32_f32_e32 v4, v4
	v_mul_lo_u32 v6, s0, v5
	v_mul_hi_u32 v11, s0, v4
	v_mul_lo_u32 v13, s1, v4
	v_mul_lo_u32 v12, s0, v4
	v_add_u32_e32 v6, v11, v6
	v_add_u32_e32 v6, v6, v13
	v_mul_hi_u32 v11, v4, v12
	v_mul_lo_u32 v13, v4, v6
	v_mul_hi_u32 v15, v4, v6
	v_mul_hi_u32 v14, v5, v12
	v_mul_lo_u32 v12, v5, v12
	v_mul_hi_u32 v16, v5, v6
	v_add_co_u32_e32 v11, vcc, v11, v13
	v_addc_co_u32_e32 v13, vcc, 0, v15, vcc
	v_mul_lo_u32 v6, v5, v6
	v_add_co_u32_e32 v11, vcc, v11, v12
	v_addc_co_u32_e32 v11, vcc, v13, v14, vcc
	v_addc_co_u32_e32 v12, vcc, 0, v16, vcc
	v_add_co_u32_e32 v6, vcc, v11, v6
	v_addc_co_u32_e32 v11, vcc, 0, v12, vcc
	v_add_co_u32_e32 v4, vcc, v4, v6
	v_addc_co_u32_e32 v5, vcc, v5, v11, vcc
	v_mul_lo_u32 v6, s0, v5
	v_mul_hi_u32 v11, s0, v4
	v_mul_lo_u32 v12, s1, v4
	v_mul_lo_u32 v13, s0, v4
	v_add_u32_e32 v6, v11, v6
	v_add_u32_e32 v6, v6, v12
	v_mul_lo_u32 v14, v4, v6
	v_mul_hi_u32 v15, v4, v13
	v_mul_hi_u32 v16, v4, v6
	v_mul_hi_u32 v12, v5, v13
	v_mul_lo_u32 v13, v5, v13
	v_mul_hi_u32 v11, v5, v6
	v_add_co_u32_e32 v14, vcc, v15, v14
	v_addc_co_u32_e32 v15, vcc, 0, v16, vcc
	v_mul_lo_u32 v6, v5, v6
	v_add_co_u32_e32 v13, vcc, v14, v13
	v_addc_co_u32_e32 v12, vcc, v15, v12, vcc
	v_addc_co_u32_e32 v11, vcc, 0, v11, vcc
	v_add_co_u32_e32 v6, vcc, v12, v6
	v_addc_co_u32_e32 v11, vcc, 0, v11, vcc
	v_add_co_u32_e32 v6, vcc, v4, v6
	v_addc_co_u32_e32 v11, vcc, v5, v11, vcc
	v_mad_u64_u32 v[4:5], s[0:1], v9, v11, 0
	v_mul_hi_u32 v12, v9, v6
	v_add_co_u32_e32 v13, vcc, v12, v4
	v_addc_co_u32_e32 v14, vcc, 0, v5, vcc
	v_mad_u64_u32 v[4:5], s[0:1], v10, v6, 0
	v_mad_u64_u32 v[11:12], s[0:1], v10, v11, 0
	v_add_co_u32_e32 v4, vcc, v13, v4
	v_addc_co_u32_e32 v4, vcc, v14, v5, vcc
	v_addc_co_u32_e32 v5, vcc, 0, v12, vcc
	v_add_co_u32_e32 v11, vcc, v4, v11
	v_addc_co_u32_e32 v6, vcc, 0, v5, vcc
	v_mul_lo_u32 v12, s25, v11
	v_mul_lo_u32 v13, s24, v6
	v_mad_u64_u32 v[4:5], s[0:1], s24, v11, 0
	v_add3_u32 v5, v5, v13, v12
	v_sub_u32_e32 v12, v10, v5
	v_mov_b32_e32 v13, s25
	v_sub_co_u32_e32 v4, vcc, v9, v4
	v_subb_co_u32_e64 v12, s[0:1], v12, v13, vcc
	v_subrev_co_u32_e64 v13, s[0:1], s24, v4
	v_subbrev_co_u32_e64 v12, s[0:1], 0, v12, s[0:1]
	v_cmp_le_u32_e64 s[0:1], s25, v12
	v_cndmask_b32_e64 v14, 0, -1, s[0:1]
	v_cmp_le_u32_e64 s[0:1], s24, v13
	v_cndmask_b32_e64 v13, 0, -1, s[0:1]
	v_cmp_eq_u32_e64 s[0:1], s25, v12
	v_cndmask_b32_e64 v12, v14, v13, s[0:1]
	v_add_co_u32_e64 v13, s[0:1], 2, v11
	v_addc_co_u32_e64 v14, s[0:1], 0, v6, s[0:1]
	v_add_co_u32_e64 v15, s[0:1], 1, v11
	v_addc_co_u32_e64 v16, s[0:1], 0, v6, s[0:1]
	v_subb_co_u32_e32 v5, vcc, v10, v5, vcc
	v_cmp_ne_u32_e64 s[0:1], 0, v12
	v_cmp_le_u32_e32 vcc, s25, v5
	v_cndmask_b32_e64 v12, v16, v14, s[0:1]
	v_cndmask_b32_e64 v14, 0, -1, vcc
	v_cmp_le_u32_e32 vcc, s24, v4
	v_cndmask_b32_e64 v4, 0, -1, vcc
	v_cmp_eq_u32_e32 vcc, s25, v5
	v_cndmask_b32_e32 v4, v14, v4, vcc
	v_cmp_ne_u32_e32 vcc, 0, v4
	v_cndmask_b32_e64 v4, v15, v13, s[0:1]
	v_cndmask_b32_e32 v6, v6, v12, vcc
	v_cndmask_b32_e32 v5, v11, v4, vcc
.LBB0_4:                                ;   in Loop: Header=BB0_2 Depth=1
	s_andn2_saveexec_b64 s[0:1], s[26:27]
	s_cbranch_execz .LBB0_6
; %bb.5:                                ;   in Loop: Header=BB0_2 Depth=1
	v_cvt_f32_u32_e32 v4, s24
	s_sub_i32 s26, 0, s24
	v_rcp_iflag_f32_e32 v4, v4
	v_mul_f32_e32 v4, 0x4f7ffffe, v4
	v_cvt_u32_f32_e32 v4, v4
	v_mul_lo_u32 v5, s26, v4
	v_mul_hi_u32 v5, v4, v5
	v_add_u32_e32 v4, v4, v5
	v_mul_hi_u32 v4, v9, v4
	v_mul_lo_u32 v5, v4, s24
	v_add_u32_e32 v6, 1, v4
	v_sub_u32_e32 v5, v9, v5
	v_subrev_u32_e32 v11, s24, v5
	v_cmp_le_u32_e32 vcc, s24, v5
	v_cndmask_b32_e32 v5, v5, v11, vcc
	v_cndmask_b32_e32 v4, v4, v6, vcc
	v_add_u32_e32 v6, 1, v4
	v_cmp_le_u32_e32 vcc, s24, v5
	v_cndmask_b32_e32 v5, v4, v6, vcc
	v_mov_b32_e32 v6, v3
.LBB0_6:                                ;   in Loop: Header=BB0_2 Depth=1
	s_or_b64 exec, exec, s[0:1]
	v_mul_lo_u32 v4, v6, s24
	v_mul_lo_u32 v13, v5, s25
	v_mad_u64_u32 v[11:12], s[0:1], v5, s24, 0
	s_load_dwordx2 s[0:1], s[6:7], 0x0
	s_load_dwordx2 s[24:25], s[2:3], 0x0
	v_add3_u32 v4, v12, v13, v4
	v_sub_co_u32_e32 v9, vcc, v9, v11
	v_subb_co_u32_e32 v4, vcc, v10, v4, vcc
	s_waitcnt lgkmcnt(0)
	v_mul_lo_u32 v10, s0, v4
	v_mul_lo_u32 v11, s1, v9
	v_mad_u64_u32 v[7:8], s[0:1], s0, v9, v[7:8]
	s_add_u32 s22, s22, 1
	s_addc_u32 s23, s23, 0
	s_add_u32 s2, s2, 8
	v_mul_lo_u32 v4, s24, v4
	v_mul_lo_u32 v12, s25, v9
	v_mad_u64_u32 v[1:2], s[0:1], s24, v9, v[1:2]
	v_add3_u32 v8, v11, v8, v10
	s_addc_u32 s3, s3, 0
	v_mov_b32_e32 v9, s14
	s_add_u32 s6, s6, 8
	v_mov_b32_e32 v10, s15
	s_addc_u32 s7, s7, 0
	v_cmp_ge_u64_e32 vcc, s[22:23], v[9:10]
	s_add_u32 s20, s20, 8
	v_add3_u32 v2, v12, v2, v4
	s_addc_u32 s21, s21, 0
	s_cbranch_vccnz .LBB0_9
; %bb.7:                                ;   in Loop: Header=BB0_2 Depth=1
	v_mov_b32_e32 v10, v6
	v_mov_b32_e32 v9, v5
	s_branch .LBB0_2
.LBB0_8:
	v_mov_b32_e32 v1, v7
	v_mov_b32_e32 v5, v9
	;; [unrolled: 1-line block ×4, first 2 shown]
.LBB0_9:
	s_load_dwordx2 s[0:1], s[4:5], 0x28
	s_mov_b32 s4, 0x2082083
	v_mul_hi_u32 v3, v0, s4
	s_lshl_b64 s[2:3], s[14:15], 3
	s_add_u32 s4, s18, s2
	s_waitcnt lgkmcnt(0)
	v_cmp_gt_u64_e32 vcc, s[0:1], v[5:6]
	v_mul_u32_u24_e32 v3, 0x7e, v3
	v_sub_u32_e32 v3, v0, v3
	v_cmp_gt_u32_e64 s[0:1], 63, v3
	s_addc_u32 s5, s19, s3
	s_and_b64 s[14:15], vcc, s[0:1]
                                        ; implicit-def: $vgpr4
                                        ; implicit-def: $vgpr11
                                        ; implicit-def: $vgpr13
                                        ; implicit-def: $vgpr9
                                        ; implicit-def: $vgpr0
                                        ; implicit-def: $vgpr10
	s_and_saveexec_b64 s[6:7], s[14:15]
	s_cbranch_execz .LBB0_11
; %bb.10:
	s_add_u32 s2, s16, s2
	s_addc_u32 s3, s17, s3
	s_load_dwordx2 s[2:3], s[2:3], 0x0
	v_mov_b32_e32 v12, s9
	v_lshlrev_b64 v[7:8], 2, v[7:8]
	v_mov_b32_e32 v4, 0
	s_waitcnt lgkmcnt(0)
	v_mul_lo_u32 v0, s3, v5
	v_mul_lo_u32 v11, s2, v6
	v_mad_u64_u32 v[9:10], s[2:3], s2, v5, 0
	v_add3_u32 v10, v10, v11, v0
	v_lshlrev_b64 v[9:10], 2, v[9:10]
	v_add_co_u32_e64 v0, s[2:3], s8, v9
	v_addc_co_u32_e64 v9, s[2:3], v12, v10, s[2:3]
	v_add_co_u32_e64 v0, s[2:3], v0, v7
	v_addc_co_u32_e64 v9, s[2:3], v9, v8, s[2:3]
	v_lshlrev_b64 v[7:8], 2, v[3:4]
	v_add_co_u32_e64 v7, s[2:3], v0, v7
	v_addc_co_u32_e64 v8, s[2:3], v9, v8, s[2:3]
	global_load_dword v4, v[7:8], off
	global_load_dword v0, v[7:8], off offset:252
	global_load_dword v11, v[7:8], off offset:504
	;; [unrolled: 1-line block ×5, first 2 shown]
.LBB0_11:
	s_or_b64 exec, exec, s[6:7]
	s_waitcnt vmcnt(2)
	v_pk_add_f16 v8, v0, v10
	s_waitcnt vmcnt(0)
	v_pk_add_f16 v12, v9, v8
	v_pk_add_f16 v8, v11, v13
	;; [unrolled: 1-line block ×3, first 2 shown]
	v_pk_fma_f16 v4, v8, 0.5, v4 op_sel_hi:[1,0,1] neg_lo:[1,0,0] neg_hi:[1,0,0]
	v_pk_add_f16 v8, v11, v13 neg_lo:[0,1] neg_hi:[0,1]
	s_movk_i32 s6, 0x3aee
	v_pk_add_f16 v7, v7, v13
	v_pk_fma_f16 v11, v8, s6, v4 op_sel:[0,0,1] op_sel_hi:[1,0,0] neg_lo:[1,0,0] neg_hi:[1,0,0]
	v_pk_fma_f16 v13, v8, s6, v4 op_sel:[0,0,1] op_sel_hi:[1,0,0]
	v_pk_add_f16 v4, v9, v10
	v_pk_fma_f16 v0, v4, 0.5, v0 op_sel_hi:[1,0,1] neg_lo:[1,0,0] neg_hi:[1,0,0]
	v_pk_add_f16 v4, v10, v9 neg_lo:[0,1] neg_hi:[0,1]
	v_pk_fma_f16 v8, v4, s6, v0 op_sel:[0,0,1] op_sel_hi:[1,0,0]
	v_pk_fma_f16 v0, v4, s6, v0 op_sel:[0,0,1] op_sel_hi:[1,0,0] neg_lo:[1,0,0] neg_hi:[1,0,0]
	v_lshrrev_b32_e32 v4, 16, v0
	v_mul_f16_e32 v9, 0x3aee, v8
	v_fma_f16 v10, v4, 0.5, -v9
	v_pk_mul_f16 v4, v0, s6 op_sel_hi:[1,0]
	s_mov_b32 s2, 0xb8003800
	v_pk_fma_f16 v9, v8, s2, v4 op_sel:[0,0,1] op_sel_hi:[1,1,0]
	v_pk_fma_f16 v4, v8, s2, v4 op_sel:[0,0,1] op_sel_hi:[1,1,0] neg_lo:[0,0,1] neg_hi:[0,0,1]
	s_mov_b32 s2, 0xffff
	v_bfi_b32 v14, s2, v9, v4
	v_lshrrev_b32_e32 v4, 16, v8
	v_mul_f16_e32 v0, -0.5, v0
	v_fma_f16 v15, v4, s6, v0
	v_sub_f16_sdwa v9, v11, v10 dst_sel:DWORD dst_unused:UNUSED_PAD src0_sel:WORD_1 src1_sel:DWORD
	v_pk_add_f16 v8, v7, v12 neg_lo:[0,1] neg_hi:[0,1]
	v_pk_add_f16 v0, v13, v14 neg_lo:[0,1] neg_hi:[0,1]
	v_sub_f16_e32 v4, v11, v15
	s_and_saveexec_b64 s[2:3], s[0:1]
	s_cbranch_execz .LBB0_13
; %bb.12:
	s_mov_b32 s0, 0x5040100
	v_mul_u32_u24_e32 v16, 6, v3
	v_pk_add_f16 v7, v7, v12
	v_alignbit_b32 v12, v13, v11, 16
	v_perm_b32 v10, v14, v10, s0
	v_lshl_add_u32 v16, v16, 2, 0
	v_pk_add_f16 v10, v12, v10
	ds_write2_b32 v16, v7, v10 offset1:1
	v_alignbit_b32 v7, v11, v13, 16
	v_alignbit_b32 v10, v15, v14, 16
	v_pk_add_f16 v7, v7, v10
	ds_write2_b32 v16, v7, v8 offset0:2 offset1:3
	v_perm_b32 v7, v0, v9, s0
	v_alignbit_b32 v10, v4, v0, 16
	ds_write2_b32 v16, v7, v10 offset0:4 offset1:5
.LBB0_13:
	s_or_b64 exec, exec, s[2:3]
	s_movk_i32 s0, 0xab
	v_mul_lo_u16_sdwa v7, v3, s0 dst_sel:DWORD dst_unused:UNUSED_PAD src0_sel:BYTE_0 src1_sel:DWORD
	v_lshrrev_b16_e32 v7, 10, v7
	v_mul_lo_u16_e32 v10, 6, v7
	v_sub_u16_e32 v14, v3, v10
	v_mov_b32_e32 v15, 3
	v_lshlrev_b32_sdwa v10, v15, v14 dst_sel:DWORD dst_unused:UNUSED_PAD src0_sel:DWORD src1_sel:BYTE_0
	s_load_dwordx2 s[2:3], s[4:5], 0x0
	s_waitcnt lgkmcnt(0)
	s_barrier
	global_load_dwordx2 v[10:11], v10, s[12:13]
	v_lshl_add_u32 v17, v3, 2, 0
	ds_read2_b32 v[12:13], v17 offset1:126
	ds_read_b32 v19, v17 offset:1008
	v_mov_b32_e32 v16, 2
	v_mul_u32_u24_e32 v7, 0x48, v7
	v_lshlrev_b32_sdwa v14, v16, v14 dst_sel:DWORD dst_unused:UNUSED_PAD src0_sel:DWORD src1_sel:BYTE_0
	s_waitcnt lgkmcnt(1)
	v_lshrrev_b32_e32 v21, 16, v13
	s_waitcnt lgkmcnt(0)
	v_lshrrev_b32_e32 v22, 16, v19
	v_mov_b32_e32 v18, 57
	v_add3_u32 v7, 0, v7, v14
	v_mul_lo_u16_sdwa v18, v3, v18 dst_sel:DWORD dst_unused:UNUSED_PAD src0_sel:BYTE_0 src1_sel:DWORD
	v_lshrrev_b32_e32 v23, 16, v12
	v_lshrrev_b16_e32 v18, 10, v18
	s_mov_b32 s4, 0xbaee
	v_mul_lo_u16_e32 v20, 18, v18
	v_sub_u16_e32 v20, v3, v20
	v_lshlrev_b32_sdwa v15, v15, v20 dst_sel:DWORD dst_unused:UNUSED_PAD src0_sel:DWORD src1_sel:BYTE_0
	s_waitcnt vmcnt(0)
	s_barrier
	v_cmp_gt_u32_e64 s[0:1], 54, v3
	v_mul_f16_sdwa v14, v10, v21 dst_sel:DWORD dst_unused:UNUSED_PAD src0_sel:WORD_1 src1_sel:DWORD
	v_mul_f16_sdwa v24, v10, v13 dst_sel:DWORD dst_unused:UNUSED_PAD src0_sel:WORD_1 src1_sel:DWORD
	;; [unrolled: 1-line block ×4, first 2 shown]
	v_fma_f16 v13, v10, v13, v14
	v_fma_f16 v10, v10, v21, -v24
	v_fma_f16 v14, v11, v19, v25
	v_fma_f16 v11, v11, v22, -v26
	v_add_f16_e32 v21, v13, v14
	v_sub_f16_e32 v22, v10, v11
	v_add_f16_e32 v24, v10, v23
	v_add_f16_e32 v10, v10, v11
	;; [unrolled: 1-line block ×3, first 2 shown]
	v_sub_f16_e32 v13, v13, v14
	v_fma_f16 v12, v21, -0.5, v12
	v_fma_f16 v10, v10, -0.5, v23
	v_add_f16_e32 v14, v19, v14
	v_add_f16_e32 v11, v24, v11
	v_fma_f16 v19, v22, s4, v12
	v_fma_f16 v12, v22, s6, v12
	;; [unrolled: 1-line block ×4, first 2 shown]
	v_pack_b32_f16 v11, v14, v11
	v_pack_b32_f16 v13, v19, v21
	;; [unrolled: 1-line block ×3, first 2 shown]
	ds_write2_b32 v7, v11, v13 offset1:6
	ds_write_b32 v7, v10 offset:48
	s_waitcnt lgkmcnt(0)
	s_barrier
	global_load_dwordx2 v[10:11], v15, s[12:13] offset:48
	v_mul_u32_u24_e32 v7, 0xd8, v18
	v_lshlrev_b32_sdwa v12, v16, v20 dst_sel:DWORD dst_unused:UNUSED_PAD src0_sel:DWORD src1_sel:BYTE_0
	v_add3_u32 v18, 0, v7, v12
	ds_read2_b32 v[12:13], v17 offset1:126
	ds_read_b32 v7, v17 offset:1008
	v_lshrrev_b32_e32 v14, 16, v8
	s_waitcnt vmcnt(0) lgkmcnt(0)
	s_barrier
	v_lshrrev_b32_e32 v15, 16, v13
	v_lshrrev_b32_e32 v16, 16, v7
	;; [unrolled: 1-line block ×3, first 2 shown]
	v_mul_f16_sdwa v20, v10, v15 dst_sel:DWORD dst_unused:UNUSED_PAD src0_sel:WORD_1 src1_sel:DWORD
	v_mul_f16_sdwa v21, v10, v13 dst_sel:DWORD dst_unused:UNUSED_PAD src0_sel:WORD_1 src1_sel:DWORD
	;; [unrolled: 1-line block ×4, first 2 shown]
	v_fma_f16 v13, v10, v13, v20
	v_fma_f16 v10, v10, v15, -v21
	v_fma_f16 v7, v11, v7, v22
	v_fma_f16 v15, v11, v16, -v23
	v_add_f16_e32 v11, v13, v12
	v_add_f16_e32 v16, v13, v7
	v_sub_f16_e32 v20, v10, v15
	v_add_f16_e32 v21, v10, v19
	v_add_f16_e32 v10, v10, v15
	v_sub_f16_e32 v22, v13, v7
	v_add_f16_e32 v11, v11, v7
	v_fma_f16 v7, v16, -0.5, v12
	v_fma_f16 v10, v10, -0.5, v19
	v_add_f16_e32 v13, v21, v15
	v_fma_f16 v12, v20, s4, v7
	v_fma_f16 v16, v22, s6, v10
	;; [unrolled: 1-line block ×4, first 2 shown]
	v_pack_b32_f16 v10, v11, v13
	v_pack_b32_f16 v19, v12, v16
	;; [unrolled: 1-line block ×3, first 2 shown]
	ds_write2_b32 v18, v10, v19 offset1:18
	ds_write_b32 v18, v20 offset:144
	v_lshrrev_b32_e32 v10, 16, v0
	s_waitcnt lgkmcnt(0)
	s_barrier
	s_waitcnt lgkmcnt(0)
                                        ; implicit-def: $vgpr19
                                        ; implicit-def: $vgpr18
	s_and_saveexec_b64 s[4:5], s[0:1]
	s_cbranch_execnz .LBB0_16
; %bb.14:
	s_or_b64 exec, exec, s[4:5]
	s_and_b64 s[0:1], vcc, s[0:1]
	s_and_saveexec_b64 s[4:5], s[0:1]
	s_cbranch_execnz .LBB0_17
.LBB0_15:
	s_endpgm
.LBB0_16:
	ds_read2_b32 v[11:12], v17 offset1:54
	ds_read2_b32 v[7:8], v17 offset0:108 offset1:162
	v_add_u32_e32 v0, 0x200, v17
	ds_read_b32 v18, v17 offset:1296
	ds_read2_b32 v[9:10], v0 offset0:88 offset1:142
	s_waitcnt lgkmcnt(3)
	v_lshrrev_b32_e32 v13, 16, v11
	v_lshrrev_b32_e32 v16, 16, v12
	s_waitcnt lgkmcnt(2)
	v_lshrrev_b32_e32 v15, 16, v7
	v_lshrrev_b32_e32 v14, 16, v8
	;; [unrolled: 3-line block ×3, first 2 shown]
	v_lshrrev_b32_e32 v19, 16, v18
	s_or_b64 exec, exec, s[4:5]
	s_and_b64 s[0:1], vcc, s[0:1]
	s_and_saveexec_b64 s[4:5], s[0:1]
	s_cbranch_execz .LBB0_15
.LBB0_17:
	v_mov_b32_e32 v17, 19
	v_mul_lo_u16_sdwa v17, v3, v17 dst_sel:DWORD dst_unused:UNUSED_PAD src0_sel:BYTE_0 src1_sel:DWORD
	v_lshrrev_b16_e32 v17, 10, v17
	v_mul_lo_u16_e32 v17, 54, v17
	v_sub_u16_e32 v17, v3, v17
	v_and_b32_e32 v17, 0xff, v17
	v_mad_u64_u32 v[24:25], s[0:1], v17, 24, s[12:13]
	v_mul_lo_u32 v17, s3, v5
	s_movk_i32 s4, 0x3574
	global_load_dwordx2 v[26:27], v[24:25], off offset:208
	global_load_dwordx4 v[20:23], v[24:25], off offset:192
	v_mul_lo_u32 v24, s2, v6
	v_mad_u64_u32 v[5:6], s[0:1], s2, v5, 0
	s_mov_b32 s0, 0xb574
	s_mov_b32 s1, 0xb70e
	v_add3_u32 v6, v6, v24, v17
	s_movk_i32 s2, 0x3a52
	s_mov_b32 s5, 0xb9e0
	s_movk_i32 s6, 0x39e0
	s_mov_b32 s3, 0xbcab
	v_lshlrev_b64 v[5:6], 2, v[5:6]
	v_add_co_u32_e32 v5, vcc, s10, v5
	s_waitcnt vmcnt(1)
	v_mul_f16_sdwa v17, v19, v27 dst_sel:DWORD dst_unused:UNUSED_PAD src0_sel:DWORD src1_sel:WORD_1
	v_fma_f16 v17, v18, v27, v17
	v_mul_f16_sdwa v18, v18, v27 dst_sel:DWORD dst_unused:UNUSED_PAD src0_sel:DWORD src1_sel:WORD_1
	v_fma_f16 v18, v19, v27, -v18
	v_mul_f16_sdwa v19, v10, v26 dst_sel:DWORD dst_unused:UNUSED_PAD src0_sel:DWORD src1_sel:WORD_1
	v_fma_f16 v19, v4, v26, -v19
	v_mul_f16_sdwa v4, v4, v26 dst_sel:DWORD dst_unused:UNUSED_PAD src0_sel:DWORD src1_sel:WORD_1
	v_fma_f16 v4, v10, v26, v4
	s_waitcnt vmcnt(0)
	v_mul_f16_sdwa v10, v14, v22 dst_sel:DWORD dst_unused:UNUSED_PAD src0_sel:DWORD src1_sel:WORD_1
	v_mul_f16_sdwa v25, v15, v21 dst_sel:DWORD dst_unused:UNUSED_PAD src0_sel:DWORD src1_sel:WORD_1
	;; [unrolled: 1-line block ×3, first 2 shown]
	v_fma_f16 v8, v8, v22, v10
	v_fma_f16 v10, v7, v21, v25
	v_mul_f16_sdwa v25, v12, v20 dst_sel:DWORD dst_unused:UNUSED_PAD src0_sel:DWORD src1_sel:WORD_1
	v_mul_f16_sdwa v24, v0, v23 dst_sel:DWORD dst_unused:UNUSED_PAD src0_sel:DWORD src1_sel:WORD_1
	v_fma_f16 v25, v16, v20, -v25
	v_mul_f16_sdwa v16, v16, v20 dst_sel:DWORD dst_unused:UNUSED_PAD src0_sel:DWORD src1_sel:WORD_1
	v_fma_f16 v24, v9, v23, v24
	v_mul_f16_sdwa v9, v9, v23 dst_sel:DWORD dst_unused:UNUSED_PAD src0_sel:DWORD src1_sel:WORD_1
	v_mul_f16_sdwa v7, v7, v21 dst_sel:DWORD dst_unused:UNUSED_PAD src0_sel:DWORD src1_sel:WORD_1
	v_fma_f16 v12, v12, v20, v16
	v_fma_f16 v14, v14, v22, -v26
	v_fma_f16 v0, v0, v23, -v9
	v_fma_f16 v7, v15, v21, -v7
	v_sub_f16_e32 v9, v12, v17
	v_sub_f16_e32 v15, v24, v8
	;; [unrolled: 1-line block ×3, first 2 shown]
	v_add_f16_e32 v20, v25, v18
	v_add_f16_e32 v21, v0, v14
	;; [unrolled: 1-line block ×6, first 2 shown]
	v_sub_f16_e32 v10, v25, v18
	v_sub_f16_e32 v0, v0, v14
	v_sub_f16_e32 v7, v7, v19
	v_sub_f16_e32 v14, v9, v15
	v_sub_f16_e32 v17, v15, v16
	v_add_f16_e32 v15, v15, v16
	v_sub_f16_e32 v18, v20, v21
	v_sub_f16_e32 v19, v21, v22
	v_add_f16_e32 v23, v20, v22
	v_sub_f16_e32 v24, v12, v8
	v_sub_f16_e32 v25, v8, v4
	v_sub_f16_e32 v20, v22, v20
	v_add_f16_e32 v22, v12, v4
	v_sub_f16_e32 v4, v4, v12
	;; [unrolled: 4-line block ×3, first 2 shown]
	v_add_f16_e32 v0, v0, v7
	v_mul_f16_e32 v17, 0x3846, v17
	v_sub_f16_e32 v7, v7, v10
	v_add_f16_e32 v21, v21, v23
	v_mul_f16_e32 v23, 0x3a52, v18
	v_mul_f16_e32 v19, 0x2b26, v19
	v_add_f16_e32 v0, v10, v0
	v_mul_f16_e32 v10, 0xbb00, v16
	v_fma_f16 v26, v14, s0, v17
	v_add_f16_e32 v8, v8, v22
	v_mul_f16_e32 v15, 0x3846, v15
	v_fma_f16 v18, v18, s2, v19
	v_fma_f16 v10, v14, s4, -v10
	v_fma_f16 v14, v20, s5, -v23
	;; [unrolled: 1-line block ×3, first 2 shown]
	v_fma_f16 v20, v9, s1, v26
	v_mul_f16_e32 v26, 0xbb00, v7
	v_mul_f16_e32 v22, 0x3a52, v24
	;; [unrolled: 1-line block ×3, first 2 shown]
	v_add_f16_e32 v11, v11, v8
	v_add_f16_e32 v13, v13, v21
	v_fma_f16 v26, v12, s4, -v26
	v_fma_f16 v12, v12, s0, v15
	s_mov_b32 s0, 0xbb00
	v_fma_f16 v21, v21, s3, v13
	v_fma_f16 v8, v8, s3, v11
	v_fma_f16 v16, v16, s0, -v17
	v_fma_f16 v22, v4, s5, -v22
	;; [unrolled: 1-line block ×4, first 2 shown]
	v_fma_f16 v24, v24, s2, v25
	v_fma_f16 v12, v0, s1, v12
	v_add_f16_e32 v19, v19, v21
	v_fma_f16 v10, v9, s1, v10
	v_fma_f16 v26, v0, s1, v26
	;; [unrolled: 1-line block ×4, first 2 shown]
	v_add_f16_e32 v4, v4, v8
	v_add_f16_e32 v23, v24, v8
	;; [unrolled: 1-line block ×3, first 2 shown]
	v_sub_f16_e32 v15, v19, v9
	v_add_f16_e32 v7, v0, v4
	v_add_f16_e32 v8, v9, v19
	v_sub_f16_e32 v9, v4, v0
	v_mov_b32_e32 v0, s11
	v_addc_co_u32_e32 v6, vcc, v0, v6, vcc
	v_lshlrev_b64 v[0:1], 2, v[1:2]
	v_mov_b32_e32 v4, 0
	v_add_co_u32_e32 v2, vcc, v5, v0
	v_addc_co_u32_e32 v5, vcc, v6, v1, vcc
	v_lshlrev_b64 v[0:1], 2, v[3:4]
	v_add_f16_e32 v18, v18, v21
	v_add_co_u32_e32 v0, vcc, v2, v0
	v_add_f16_e32 v24, v20, v18
	v_add_f16_e32 v14, v14, v21
	v_sub_f16_e32 v21, v23, v12
	v_sub_f16_e32 v18, v18, v20
	v_add_f16_e32 v12, v12, v23
	v_addc_co_u32_e32 v1, vcc, v5, v1, vcc
	v_pack_b32_f16 v2, v11, v13
	v_add_f16_e32 v17, v10, v14
	v_sub_f16_e32 v10, v14, v10
	v_add_f16_e32 v14, v26, v22
	global_store_dword v[0:1], v2, off
	v_pack_b32_f16 v2, v12, v18
	global_store_dword v[0:1], v2, off offset:216
	v_pack_b32_f16 v2, v14, v10
	global_store_dword v[0:1], v2, off offset:432
	v_pack_b32_f16 v2, v9, v8
	v_sub_f16_e32 v16, v22, v26
	global_store_dword v[0:1], v2, off offset:648
	v_pack_b32_f16 v2, v7, v15
	global_store_dword v[0:1], v2, off offset:864
	v_pack_b32_f16 v2, v16, v17
	;; [unrolled: 2-line block ×3, first 2 shown]
	global_store_dword v[0:1], v2, off offset:1296
	s_endpgm
	.section	.rodata,"a",@progbits
	.p2align	6, 0x0
	.amdhsa_kernel fft_rtc_back_len378_factors_6_3_3_7_wgs_126_tpt_126_half_op_CI_CI_unitstride_sbrr_dirReg
		.amdhsa_group_segment_fixed_size 0
		.amdhsa_private_segment_fixed_size 0
		.amdhsa_kernarg_size 104
		.amdhsa_user_sgpr_count 6
		.amdhsa_user_sgpr_private_segment_buffer 1
		.amdhsa_user_sgpr_dispatch_ptr 0
		.amdhsa_user_sgpr_queue_ptr 0
		.amdhsa_user_sgpr_kernarg_segment_ptr 1
		.amdhsa_user_sgpr_dispatch_id 0
		.amdhsa_user_sgpr_flat_scratch_init 0
		.amdhsa_user_sgpr_private_segment_size 0
		.amdhsa_uses_dynamic_stack 0
		.amdhsa_system_sgpr_private_segment_wavefront_offset 0
		.amdhsa_system_sgpr_workgroup_id_x 1
		.amdhsa_system_sgpr_workgroup_id_y 0
		.amdhsa_system_sgpr_workgroup_id_z 0
		.amdhsa_system_sgpr_workgroup_info 0
		.amdhsa_system_vgpr_workitem_id 0
		.amdhsa_next_free_vgpr 28
		.amdhsa_next_free_sgpr 28
		.amdhsa_reserve_vcc 1
		.amdhsa_reserve_flat_scratch 0
		.amdhsa_float_round_mode_32 0
		.amdhsa_float_round_mode_16_64 0
		.amdhsa_float_denorm_mode_32 3
		.amdhsa_float_denorm_mode_16_64 3
		.amdhsa_dx10_clamp 1
		.amdhsa_ieee_mode 1
		.amdhsa_fp16_overflow 0
		.amdhsa_exception_fp_ieee_invalid_op 0
		.amdhsa_exception_fp_denorm_src 0
		.amdhsa_exception_fp_ieee_div_zero 0
		.amdhsa_exception_fp_ieee_overflow 0
		.amdhsa_exception_fp_ieee_underflow 0
		.amdhsa_exception_fp_ieee_inexact 0
		.amdhsa_exception_int_div_zero 0
	.end_amdhsa_kernel
	.text
.Lfunc_end0:
	.size	fft_rtc_back_len378_factors_6_3_3_7_wgs_126_tpt_126_half_op_CI_CI_unitstride_sbrr_dirReg, .Lfunc_end0-fft_rtc_back_len378_factors_6_3_3_7_wgs_126_tpt_126_half_op_CI_CI_unitstride_sbrr_dirReg
                                        ; -- End function
	.section	.AMDGPU.csdata,"",@progbits
; Kernel info:
; codeLenInByte = 3428
; NumSgprs: 32
; NumVgprs: 28
; ScratchSize: 0
; MemoryBound: 0
; FloatMode: 240
; IeeeMode: 1
; LDSByteSize: 0 bytes/workgroup (compile time only)
; SGPRBlocks: 3
; VGPRBlocks: 6
; NumSGPRsForWavesPerEU: 32
; NumVGPRsForWavesPerEU: 28
; Occupancy: 8
; WaveLimiterHint : 1
; COMPUTE_PGM_RSRC2:SCRATCH_EN: 0
; COMPUTE_PGM_RSRC2:USER_SGPR: 6
; COMPUTE_PGM_RSRC2:TRAP_HANDLER: 0
; COMPUTE_PGM_RSRC2:TGID_X_EN: 1
; COMPUTE_PGM_RSRC2:TGID_Y_EN: 0
; COMPUTE_PGM_RSRC2:TGID_Z_EN: 0
; COMPUTE_PGM_RSRC2:TIDIG_COMP_CNT: 0
	.type	__hip_cuid_8ef3c05bd854d102,@object ; @__hip_cuid_8ef3c05bd854d102
	.section	.bss,"aw",@nobits
	.globl	__hip_cuid_8ef3c05bd854d102
__hip_cuid_8ef3c05bd854d102:
	.byte	0                               ; 0x0
	.size	__hip_cuid_8ef3c05bd854d102, 1

	.ident	"AMD clang version 19.0.0git (https://github.com/RadeonOpenCompute/llvm-project roc-6.4.0 25133 c7fe45cf4b819c5991fe208aaa96edf142730f1d)"
	.section	".note.GNU-stack","",@progbits
	.addrsig
	.addrsig_sym __hip_cuid_8ef3c05bd854d102
	.amdgpu_metadata
---
amdhsa.kernels:
  - .args:
      - .actual_access:  read_only
        .address_space:  global
        .offset:         0
        .size:           8
        .value_kind:     global_buffer
      - .offset:         8
        .size:           8
        .value_kind:     by_value
      - .actual_access:  read_only
        .address_space:  global
        .offset:         16
        .size:           8
        .value_kind:     global_buffer
      - .actual_access:  read_only
        .address_space:  global
        .offset:         24
        .size:           8
        .value_kind:     global_buffer
      - .actual_access:  read_only
        .address_space:  global
        .offset:         32
        .size:           8
        .value_kind:     global_buffer
      - .offset:         40
        .size:           8
        .value_kind:     by_value
      - .actual_access:  read_only
        .address_space:  global
        .offset:         48
        .size:           8
        .value_kind:     global_buffer
      - .actual_access:  read_only
        .address_space:  global
        .offset:         56
        .size:           8
        .value_kind:     global_buffer
      - .offset:         64
        .size:           4
        .value_kind:     by_value
      - .actual_access:  read_only
        .address_space:  global
        .offset:         72
        .size:           8
        .value_kind:     global_buffer
      - .actual_access:  read_only
        .address_space:  global
        .offset:         80
        .size:           8
        .value_kind:     global_buffer
      - .actual_access:  read_only
        .address_space:  global
        .offset:         88
        .size:           8
        .value_kind:     global_buffer
      - .actual_access:  write_only
        .address_space:  global
        .offset:         96
        .size:           8
        .value_kind:     global_buffer
    .group_segment_fixed_size: 0
    .kernarg_segment_align: 8
    .kernarg_segment_size: 104
    .language:       OpenCL C
    .language_version:
      - 2
      - 0
    .max_flat_workgroup_size: 126
    .name:           fft_rtc_back_len378_factors_6_3_3_7_wgs_126_tpt_126_half_op_CI_CI_unitstride_sbrr_dirReg
    .private_segment_fixed_size: 0
    .sgpr_count:     32
    .sgpr_spill_count: 0
    .symbol:         fft_rtc_back_len378_factors_6_3_3_7_wgs_126_tpt_126_half_op_CI_CI_unitstride_sbrr_dirReg.kd
    .uniform_work_group_size: 1
    .uses_dynamic_stack: false
    .vgpr_count:     28
    .vgpr_spill_count: 0
    .wavefront_size: 64
amdhsa.target:   amdgcn-amd-amdhsa--gfx906
amdhsa.version:
  - 1
  - 2
...

	.end_amdgpu_metadata
